;; amdgpu-corpus repo=ROCm/rocFFT kind=compiled arch=gfx906 opt=O3
	.text
	.amdgcn_target "amdgcn-amd-amdhsa--gfx906"
	.amdhsa_code_object_version 6
	.protected	bluestein_single_fwd_len99_dim1_sp_op_CI_CI ; -- Begin function bluestein_single_fwd_len99_dim1_sp_op_CI_CI
	.globl	bluestein_single_fwd_len99_dim1_sp_op_CI_CI
	.p2align	8
	.type	bluestein_single_fwd_len99_dim1_sp_op_CI_CI,@function
bluestein_single_fwd_len99_dim1_sp_op_CI_CI: ; @bluestein_single_fwd_len99_dim1_sp_op_CI_CI
; %bb.0:
	v_mul_u32_u24_e32 v1, 0x1746, v0
	s_load_dwordx4 s[16:19], s[4:5], 0x28
	v_lshrrev_b32_e32 v1, 16, v1
	v_mad_u64_u32 v[58:59], s[0:1], s6, 20, v[1:2]
	v_mov_b32_e32 v59, 0
                                        ; kill: def $vgpr2 killed $sgpr0 killed $exec
	s_waitcnt lgkmcnt(0)
	v_cmp_gt_u64_e32 vcc, s[16:17], v[58:59]
	s_and_saveexec_b64 s[0:1], vcc
	s_cbranch_execz .LBB0_10
; %bb.1:
	s_load_dwordx4 s[0:3], s[4:5], 0x18
	s_load_dwordx4 s[12:15], s[4:5], 0x0
	v_mul_lo_u16_e32 v1, 11, v1
	v_sub_u16_e32 v76, v0, v1
	v_lshlrev_b32_e32 v22, 3, v76
	s_waitcnt lgkmcnt(0)
	s_load_dwordx4 s[8:11], s[0:1], 0x0
	v_mov_b32_e32 v12, 0xfffffe48
	global_load_dwordx2 v[67:68], v22, s[12:13] offset:264
                                        ; implicit-def: $vgpr73
	s_waitcnt lgkmcnt(0)
	v_mad_u64_u32 v[0:1], s[0:1], s10, v58, 0
	v_mad_u64_u32 v[2:3], s[0:1], s8, v76, 0
	s_mul_i32 s7, s8, 0x108
	v_mad_u64_u32 v[4:5], s[0:1], s11, v58, v[1:2]
	v_mad_u64_u32 v[5:6], s[0:1], s9, v76, v[3:4]
	v_mov_b32_e32 v1, v4
	v_lshlrev_b64 v[0:1], 3, v[0:1]
	v_mov_b32_e32 v6, s19
	v_mov_b32_e32 v3, v5
	v_add_co_u32_e32 v4, vcc, s18, v0
	v_addc_co_u32_e32 v5, vcc, v6, v1, vcc
	v_lshlrev_b64 v[0:1], 3, v[2:3]
	s_mul_i32 s0, s9, 0x108
	v_add_co_u32_e32 v0, vcc, v4, v0
	s_mul_hi_u32 s1, s8, 0x108
	v_addc_co_u32_e32 v1, vcc, v5, v1, vcc
	s_add_i32 s6, s1, s0
	global_load_dwordx2 v[2:3], v[0:1], off
	v_mov_b32_e32 v4, s6
	v_add_co_u32_e32 v0, vcc, s7, v0
	v_addc_co_u32_e32 v1, vcc, v1, v4, vcc
	v_mov_b32_e32 v5, s6
	v_add_co_u32_e32 v4, vcc, s7, v0
	v_addc_co_u32_e32 v5, vcc, v1, v5, vcc
	global_load_dwordx2 v[6:7], v[0:1], off
	global_load_dwordx2 v[8:9], v[4:5], off
	v_mad_u64_u32 v[0:1], s[0:1], s8, v12, v[4:5]
	s_mul_i32 s0, s9, 0xfffffe48
	s_sub_i32 s9, s0, s8
	v_add_u32_e32 v1, s9, v1
	global_load_dwordx2 v[69:70], v22, s[12:13]
	global_load_dwordx2 v[65:66], v22, s[12:13] offset:528
	global_load_dwordx2 v[4:5], v[0:1], off
	global_load_dwordx2 v[61:62], v22, s[12:13] offset:88
	v_mov_b32_e32 v10, s6
	v_add_co_u32_e32 v0, vcc, s7, v0
	v_addc_co_u32_e32 v1, vcc, v1, v10, vcc
	global_load_dwordx2 v[10:11], v[0:1], off
	v_mov_b32_e32 v13, s6
	v_add_co_u32_e32 v0, vcc, s7, v0
	v_addc_co_u32_e32 v1, vcc, v1, v13, vcc
	v_mad_u64_u32 v[12:13], s[0:1], s8, v12, v[0:1]
	global_load_dwordx2 v[63:64], v22, s[12:13] offset:352
	global_load_dwordx2 v[14:15], v[0:1], off
	global_load_dwordx2 v[59:60], v22, s[12:13] offset:616
	v_mov_b32_e32 v16, s6
	v_add_u32_e32 v13, s9, v13
	global_load_dwordx2 v[0:1], v[12:13], off
	global_load_dwordx2 v[56:57], v22, s[12:13] offset:176
	v_add_co_u32_e32 v12, vcc, s7, v12
	v_addc_co_u32_e32 v13, vcc, v13, v16, vcc
	global_load_dwordx2 v[16:17], v[12:13], off
	global_load_dwordx2 v[54:55], v22, s[12:13] offset:440
	v_mov_b32_e32 v18, s6
	v_add_co_u32_e32 v12, vcc, s7, v12
	v_addc_co_u32_e32 v13, vcc, v13, v18, vcc
	global_load_dwordx2 v[52:53], v22, s[12:13] offset:704
	global_load_dwordx2 v[18:19], v[12:13], off
	s_mov_b32 s0, 0xcccccccd
	v_mul_hi_u32 v12, v58, s0
	s_load_dwordx4 s[8:11], s[2:3], 0x0
	v_add_co_u32_e32 v23, vcc, 11, v76
	v_lshrrev_b32_e32 v12, 4, v12
	v_mul_lo_u32 v12, v12, 20
	v_add_co_u32_e32 v24, vcc, 22, v76
	s_movk_i32 s0, 0xab
	v_sub_u32_e32 v12, v58, v12
	v_mul_u32_u24_e32 v12, 0x63, v12
	v_lshlrev_b32_e32 v77, 3, v12
	v_add_u32_e32 v75, v22, v77
	v_add_co_u32_e32 v71, vcc, s12, v22
	s_load_dwordx2 s[2:3], s[4:5], 0x38
	s_waitcnt vmcnt(13)
	v_mul_f32_e32 v12, v3, v70
	v_mul_f32_e32 v13, v2, v70
	v_fmac_f32_e32 v12, v2, v69
	v_fma_f32 v13, v3, v69, -v13
	v_mul_f32_e32 v2, v7, v68
	v_mul_f32_e32 v3, v6, v68
	v_fmac_f32_e32 v2, v6, v67
	v_fma_f32 v3, v7, v67, -v3
	ds_write_b64 v75, v[2:3] offset:264
	s_waitcnt vmcnt(12)
	v_mul_f32_e32 v2, v9, v66
	v_mul_f32_e32 v3, v8, v66
	v_fmac_f32_e32 v2, v8, v65
	v_fma_f32 v3, v9, v65, -v3
	ds_write_b64 v75, v[2:3] offset:528
	s_waitcnt vmcnt(10)
	v_mul_f32_e32 v2, v5, v62
	v_mul_f32_e32 v3, v4, v62
	v_fmac_f32_e32 v2, v4, v61
	v_fma_f32 v3, v5, v61, -v3
	ds_write2_b64 v75, v[12:13], v[2:3] offset1:11
	s_waitcnt vmcnt(4)
	v_mul_f32_e32 v6, v1, v57
	v_fmac_f32_e32 v6, v0, v56
	v_mul_f32_e32 v0, v0, v57
	v_mul_f32_e32 v2, v11, v64
	;; [unrolled: 1-line block ×3, first 2 shown]
	v_fma_f32 v7, v1, v56, -v0
	s_waitcnt vmcnt(2)
	v_mul_f32_e32 v0, v17, v55
	v_mul_f32_e32 v1, v16, v55
	v_fmac_f32_e32 v2, v10, v63
	v_fma_f32 v3, v11, v63, -v3
	v_fmac_f32_e32 v0, v16, v54
	v_fma_f32 v1, v17, v54, -v1
	v_mul_f32_e32 v4, v15, v60
	v_mul_f32_e32 v5, v14, v60
	ds_write2_b64 v75, v[2:3], v[0:1] offset0:44 offset1:55
	s_waitcnt vmcnt(0)
	v_mul_f32_e32 v0, v19, v53
	v_mul_f32_e32 v1, v18, v53
	v_fmac_f32_e32 v4, v14, v59
	v_fma_f32 v5, v15, v59, -v5
	v_fmac_f32_e32 v0, v18, v52
	v_fma_f32 v1, v19, v52, -v1
	ds_write_b64 v75, v[6:7] offset:176
	ds_write2_b64 v75, v[4:5], v[0:1] offset0:77 offset1:88
	s_waitcnt lgkmcnt(0)
	s_barrier
	ds_read2_b64 v[0:3], v75 offset1:11
	ds_read2_b64 v[4:7], v75 offset0:22 offset1:33
	ds_read2_b64 v[8:11], v75 offset0:66 offset1:77
	ds_read2_b64 v[12:15], v75 offset0:44 offset1:55
	ds_read_b64 v[16:17], v75 offset:704
	s_waitcnt lgkmcnt(0)
	s_barrier
	v_add_f32_e32 v18, v0, v6
	v_add_f32_e32 v19, v6, v8
	v_fma_f32 v0, -0.5, v19, v0
	v_sub_f32_e32 v19, v7, v9
	v_mov_b32_e32 v20, v0
	v_fmac_f32_e32 v20, 0x3f5db3d7, v19
	v_fmac_f32_e32 v0, 0xbf5db3d7, v19
	v_add_f32_e32 v19, v1, v7
	v_add_f32_e32 v7, v7, v9
	v_fma_f32 v1, -0.5, v7, v1
	v_sub_f32_e32 v6, v6, v8
	v_mov_b32_e32 v21, v1
	v_add_f32_e32 v7, v12, v10
	v_fmac_f32_e32 v21, 0xbf5db3d7, v6
	v_fmac_f32_e32 v1, 0x3f5db3d7, v6
	v_add_f32_e32 v6, v2, v12
	v_fma_f32 v2, -0.5, v7, v2
	v_add_f32_e32 v18, v18, v8
	v_add_f32_e32 v19, v19, v9
	v_sub_f32_e32 v7, v13, v11
	v_mov_b32_e32 v8, v2
	v_add_f32_e32 v9, v13, v11
	v_fmac_f32_e32 v8, 0x3f5db3d7, v7
	v_fmac_f32_e32 v2, 0xbf5db3d7, v7
	v_add_f32_e32 v7, v3, v13
	v_fmac_f32_e32 v3, -0.5, v9
	v_add_f32_e32 v6, v6, v10
	v_add_f32_e32 v7, v7, v11
	v_sub_f32_e32 v10, v12, v10
	v_mov_b32_e32 v9, v3
	v_add_f32_e32 v11, v14, v16
	v_fmac_f32_e32 v9, 0xbf5db3d7, v10
	v_fmac_f32_e32 v3, 0x3f5db3d7, v10
	v_add_f32_e32 v10, v4, v14
	v_fma_f32 v4, -0.5, v11, v4
	v_sub_f32_e32 v11, v15, v17
	v_mov_b32_e32 v12, v4
	v_add_f32_e32 v13, v15, v17
	v_fmac_f32_e32 v12, 0x3f5db3d7, v11
	v_fmac_f32_e32 v4, 0xbf5db3d7, v11
	v_add_f32_e32 v11, v5, v15
	v_fmac_f32_e32 v5, -0.5, v13
	v_sub_f32_e32 v14, v14, v16
	v_mov_b32_e32 v13, v5
	v_fmac_f32_e32 v13, 0xbf5db3d7, v14
	v_fmac_f32_e32 v5, 0x3f5db3d7, v14
	v_mul_lo_u16_e32 v14, 3, v76
	v_lshl_add_u32 v78, v14, 3, v77
	ds_write2_b64 v78, v[18:19], v[20:21] offset1:1
	ds_write_b64 v78, v[0:1] offset:16
	v_mul_u32_u24_e32 v0, 3, v23
	v_lshl_add_u32 v79, v0, 3, v77
	v_mul_u32_u24_e32 v0, 3, v24
	v_lshl_add_u32 v80, v0, 3, v77
	v_mul_lo_u16_sdwa v0, v76, s0 dst_sel:DWORD dst_unused:UNUSED_PAD src0_sel:BYTE_0 src1_sel:DWORD
	v_lshrrev_b16_e32 v25, 9, v0
	ds_write2_b64 v79, v[6:7], v[8:9] offset1:1
	ds_write_b64 v79, v[2:3] offset:16
	v_mul_lo_u16_e32 v0, 3, v25
	v_mul_lo_u16_sdwa v8, v24, s0 dst_sel:DWORD dst_unused:UNUSED_PAD src0_sel:BYTE_0 src1_sel:DWORD
	v_sub_u16_e32 v26, v76, v0
	v_mul_lo_u16_sdwa v1, v23, s0 dst_sel:DWORD dst_unused:UNUSED_PAD src0_sel:BYTE_0 src1_sel:DWORD
	v_lshrrev_b16_e32 v28, 9, v8
	v_lshlrev_b16_e32 v0, 1, v26
	v_lshrrev_b16_e32 v27, 9, v1
	v_mul_lo_u16_e32 v8, 3, v28
	v_and_b32_e32 v0, 0xfe, v0
	v_mul_lo_u16_e32 v1, 3, v27
	v_sub_u16_e32 v24, v24, v8
	v_mov_b32_e32 v8, 4
	v_add_f32_e32 v10, v10, v16
	v_add_f32_e32 v11, v11, v17
	v_lshlrev_b32_e32 v0, 3, v0
	v_sub_u16_e32 v23, v23, v1
	v_lshlrev_b32_sdwa v8, v8, v24 dst_sel:DWORD dst_unused:UNUSED_PAD src0_sel:DWORD src1_sel:BYTE_0
	ds_write2_b64 v80, v[10:11], v[12:13] offset1:1
	ds_write_b64 v80, v[4:5] offset:16
	s_waitcnt lgkmcnt(0)
	s_barrier
	global_load_dwordx4 v[4:7], v0, s[14:15]
	ds_read2_b64 v[12:15], v75 offset0:66 offset1:77
	global_load_dwordx4 v[8:11], v8, s[14:15]
	v_lshlrev_b16_e32 v0, 1, v23
	v_and_b32_e32 v0, 0xfe, v0
	v_lshlrev_b32_e32 v0, 3, v0
	global_load_dwordx4 v[0:3], v0, s[14:15]
	v_mov_b32_e32 v16, s13
	v_addc_co_u32_e32 v72, vcc, 0, v16, vcc
	ds_read2_b64 v[16:19], v75 offset0:44 offset1:55
	ds_read_b64 v[20:21], v75 offset:704
	ds_read2_b64 v[36:39], v75 offset0:22 offset1:33
	ds_read2_b64 v[40:43], v75 offset1:11
	v_cmp_gt_u16_e32 vcc, 9, v76
	s_waitcnt vmcnt(0) lgkmcnt(0)
	s_barrier
	v_mul_f32_e32 v22, v13, v7
	v_fma_f32 v22, v12, v6, -v22
	v_mul_f32_e32 v12, v12, v7
	v_fmac_f32_e32 v12, v13, v6
	v_mul_f32_e32 v29, v38, v5
	v_fmac_f32_e32 v29, v39, v4
	v_mul_f32_e32 v13, v15, v3
	v_fma_f32 v13, v14, v2, -v13
	v_mul_f32_e32 v14, v14, v3
	v_fmac_f32_e32 v14, v15, v2
	v_mul_f32_e32 v15, v17, v1
	v_fma_f32 v15, v16, v0, -v15
	;; [unrolled: 4-line block ×5, first 2 shown]
	v_add_f32_e32 v31, v21, v22
	v_add_f32_e32 v30, v40, v21
	v_fma_f32 v44, -0.5, v31, v40
	v_add_f32_e32 v32, v30, v22
	v_mov_b32_e32 v34, v44
	v_sub_f32_e32 v30, v29, v12
	v_fmac_f32_e32 v34, 0x3f5db3d7, v30
	v_fmac_f32_e32 v44, 0xbf5db3d7, v30
	v_add_f32_e32 v30, v41, v29
	v_add_f32_e32 v33, v30, v12
	;; [unrolled: 1-line block ×3, first 2 shown]
	v_fma_f32 v45, -0.5, v12, v41
	v_sub_f32_e32 v12, v21, v22
	v_mov_b32_e32 v35, v45
	v_fmac_f32_e32 v35, 0xbf5db3d7, v12
	v_fmac_f32_e32 v45, 0x3f5db3d7, v12
	v_add_f32_e32 v12, v42, v15
	v_add_f32_e32 v46, v12, v13
	;; [unrolled: 1-line block ×3, first 2 shown]
	v_fma_f32 v42, -0.5, v12, v42
	v_mov_b32_e32 v40, v42
	v_sub_f32_e32 v12, v16, v14
	v_fmac_f32_e32 v40, 0x3f5db3d7, v12
	v_fmac_f32_e32 v42, 0xbf5db3d7, v12
	v_add_f32_e32 v12, v43, v16
	v_add_f32_e32 v47, v12, v14
	;; [unrolled: 1-line block ×3, first 2 shown]
	v_fmac_f32_e32 v43, -0.5, v12
	v_sub_f32_e32 v12, v15, v13
	v_mov_b32_e32 v41, v43
	v_add_f32_e32 v13, v17, v19
	v_fmac_f32_e32 v41, 0xbf5db3d7, v12
	v_fmac_f32_e32 v43, 0x3f5db3d7, v12
	v_add_f32_e32 v12, v36, v17
	v_fma_f32 v36, -0.5, v13, v36
	v_add_f32_e32 v48, v12, v19
	v_mov_b32_e32 v50, v36
	v_sub_f32_e32 v12, v18, v20
	v_fmac_f32_e32 v50, 0x3f5db3d7, v12
	v_fmac_f32_e32 v36, 0xbf5db3d7, v12
	v_add_f32_e32 v12, v37, v18
	v_add_f32_e32 v49, v12, v20
	;; [unrolled: 1-line block ×3, first 2 shown]
	v_fmac_f32_e32 v37, -0.5, v12
	v_sub_f32_e32 v12, v17, v19
	v_mov_b32_e32 v51, v37
	v_fmac_f32_e32 v51, 0xbf5db3d7, v12
	v_fmac_f32_e32 v37, 0x3f5db3d7, v12
	v_mad_legacy_u16 v12, v25, 9, v26
	v_mad_legacy_u16 v13, v27, 9, v23
	v_mul_u32_u24_e32 v14, 9, v28
	v_and_b32_e32 v12, 0xff, v12
	v_add_u32_sdwa v14, v14, v24 dst_sel:DWORD dst_unused:UNUSED_PAD src0_sel:DWORD src1_sel:BYTE_0
	v_lshl_add_u32 v83, v12, 3, v77
	v_and_b32_e32 v12, 0xff, v13
	v_lshl_add_u32 v82, v12, 3, v77
	v_lshl_add_u32 v81, v14, 3, v77
	ds_write2_b64 v83, v[32:33], v[34:35] offset1:3
	ds_write_b64 v83, v[44:45] offset:48
	ds_write2_b64 v82, v[46:47], v[40:41] offset1:3
	ds_write_b64 v82, v[42:43] offset:48
	;; [unrolled: 2-line block ×3, first 2 shown]
	s_waitcnt lgkmcnt(0)
	s_barrier
	s_and_saveexec_b64 s[0:1], vcc
	s_cbranch_execz .LBB0_3
; %bb.2:
	ds_read2_b64 v[32:35], v75 offset1:9
	ds_read2_b64 v[44:47], v75 offset0:18 offset1:27
	ds_read2_b64 v[40:43], v75 offset0:36 offset1:45
	;; [unrolled: 1-line block ×4, first 2 shown]
	ds_read_b64 v[73:74], v75 offset:720
.LBB0_3:
	s_or_b64 exec, exec, s[0:1]
	v_add_u32_e32 v12, -9, v76
	v_cndmask_b32_e32 v12, v12, v76, vcc
	v_mul_hi_i32_i24_e32 v13, 0x50, v12
	v_mul_i32_i24_e32 v12, 0x50, v12
	v_mov_b32_e32 v14, s15
	v_add_co_u32_e64 v84, s[0:1], s14, v12
	v_addc_co_u32_e64 v85, s[0:1], v14, v13, s[0:1]
	global_load_dwordx4 v[24:27], v[84:85], off offset:48
	global_load_dwordx4 v[20:23], v[84:85], off offset:64
	;; [unrolled: 1-line block ×5, first 2 shown]
	s_mov_b32 s4, 0x3f575c64
	s_mov_b32 s5, 0x3ed4b147
	;; [unrolled: 1-line block ×5, first 2 shown]
	s_waitcnt vmcnt(4) lgkmcnt(5)
	v_mul_f32_e32 v84, v34, v25
	s_waitcnt lgkmcnt(4)
	v_mul_f32_e32 v85, v44, v27
	s_waitcnt vmcnt(2) lgkmcnt(2)
	v_mul_f32_e32 v89, v48, v15
	s_waitcnt vmcnt(1)
	v_mul_f32_e32 v100, v51, v17
	s_waitcnt vmcnt(0) lgkmcnt(0)
	v_mul_f32_e32 v94, v73, v31
	v_mul_f32_e32 v101, v37, v19
	;; [unrolled: 1-line block ×3, first 2 shown]
	v_fmac_f32_e32 v84, v35, v24
	v_fmac_f32_e32 v94, v74, v30
	v_mul_f32_e32 v93, v35, v25
	v_mul_f32_e32 v86, v46, v21
	;; [unrolled: 1-line block ×8, first 2 shown]
	v_fmac_f32_e32 v85, v45, v26
	v_fmac_f32_e32 v89, v49, v14
	v_fma_f32 v49, v50, v16, -v100
	v_fma_f32 v50, v36, v18, -v101
	v_fmac_f32_e32 v92, v39, v28
	v_sub_f32_e32 v101, v84, v94
	v_mul_f32_e32 v95, v45, v27
	v_mul_f32_e32 v96, v47, v21
	;; [unrolled: 1-line block ×4, first 2 shown]
	v_fma_f32 v93, v34, v24, -v93
	v_fmac_f32_e32 v86, v47, v20
	v_fma_f32 v47, v42, v12, -v98
	v_fmac_f32_e32 v90, v51, v16
	v_fmac_f32_e32 v91, v37, v18
	v_fma_f32 v51, v38, v28, -v102
	v_fma_f32 v73, v73, v30, -v103
	v_sub_f32_e32 v102, v85, v92
	v_mul_f32_e32 v98, 0xbf0a6770, v101
	v_fma_f32 v95, v44, v26, -v95
	v_fma_f32 v45, v46, v20, -v96
	;; [unrolled: 1-line block ×3, first 2 shown]
	v_fmac_f32_e32 v87, v41, v22
	v_fma_f32 v48, v48, v14, -v99
	v_add_f32_e32 v34, v93, v73
	v_sub_f32_e32 v109, v93, v73
	v_sub_f32_e32 v103, v86, v91
	v_mul_f32_e32 v99, 0xbf68dda4, v102
	v_mov_b32_e32 v40, v98
	v_mul_f32_e32 v88, v42, v13
	v_add_f32_e32 v37, v84, v94
	v_add_f32_e32 v35, v95, v51
	v_sub_f32_e32 v110, v95, v51
	v_mul_f32_e32 v104, 0xbf0a6770, v109
	v_mul_f32_e32 v100, 0xbf7d64f0, v103
	v_mov_b32_e32 v42, v99
	v_fmac_f32_e32 v40, 0x3f575c64, v34
	v_sub_f32_e32 v115, v87, v90
	v_add_f32_e32 v38, v85, v92
	v_add_f32_e32 v36, v45, v50
	v_sub_f32_e32 v111, v45, v50
	v_mul_f32_e32 v105, 0xbf68dda4, v110
	v_fma_f32 v41, v37, s4, -v104
	v_mov_b32_e32 v74, v100
	v_fmac_f32_e32 v42, 0x3ed4b147, v35
	v_add_f32_e32 v40, v32, v40
	v_mul_f32_e32 v107, 0xbf4178ce, v115
	v_fmac_f32_e32 v88, v43, v12
	v_add_f32_e32 v39, v86, v91
	v_add_f32_e32 v44, v46, v49
	v_mul_f32_e32 v106, 0xbf7d64f0, v111
	v_fma_f32 v43, v38, s5, -v105
	v_add_f32_e32 v41, v33, v41
	v_fmac_f32_e32 v74, 0xbe11bafb, v36
	v_add_f32_e32 v40, v42, v40
	v_sub_f32_e32 v118, v46, v49
	v_mov_b32_e32 v42, v107
	v_fma_f32 v96, v39, s7, -v106
	v_add_f32_e32 v41, v43, v41
	v_add_f32_e32 v40, v74, v40
	;; [unrolled: 1-line block ×3, first 2 shown]
	v_mul_f32_e32 v112, 0xbf4178ce, v118
	v_fmac_f32_e32 v42, 0xbf27a4f4, v44
	v_sub_f32_e32 v117, v88, v89
	v_add_f32_e32 v41, v96, v41
	v_add_f32_e32 v40, v42, v40
	v_fma_f32 v42, v74, s6, -v112
	v_mul_f32_e32 v113, 0xbe903f40, v117
	v_add_f32_e32 v41, v42, v41
	v_add_f32_e32 v96, v47, v48
	v_sub_f32_e32 v124, v47, v48
	v_mov_b32_e32 v42, v113
	v_add_f32_e32 v97, v88, v89
	v_mul_f32_e32 v114, 0xbe903f40, v124
	v_fmac_f32_e32 v42, 0xbf75a155, v96
	v_mul_f32_e32 v108, 0xbf68dda4, v101
	v_add_f32_e32 v40, v42, v40
	v_fma_f32 v42, v97, s14, -v114
	v_add_f32_e32 v41, v42, v41
	v_mov_b32_e32 v42, v108
	v_mul_f32_e32 v116, 0xbf4178ce, v102
	v_fmac_f32_e32 v42, 0x3ed4b147, v34
	v_mov_b32_e32 v43, v116
	v_add_f32_e32 v42, v32, v42
	v_fmac_f32_e32 v43, 0xbf27a4f4, v35
	v_mul_f32_e32 v121, 0xbf68dda4, v109
	v_add_f32_e32 v42, v43, v42
	v_fma_f32 v43, v37, s5, -v121
	v_mul_f32_e32 v122, 0xbf4178ce, v110
	v_add_f32_e32 v43, v33, v43
	v_fma_f32 v119, v38, s6, -v122
	v_add_f32_e32 v43, v119, v43
	v_mul_f32_e32 v119, 0x3e903f40, v103
	v_mov_b32_e32 v120, v119
	v_fmac_f32_e32 v120, 0xbf75a155, v36
	v_mul_f32_e32 v125, 0x3e903f40, v111
	v_add_f32_e32 v42, v120, v42
	v_fma_f32 v120, v39, s14, -v125
	v_add_f32_e32 v43, v120, v43
	v_mul_f32_e32 v120, 0x3f7d64f0, v115
	v_mov_b32_e32 v123, v120
	v_fmac_f32_e32 v123, 0xbe11bafb, v44
	;; [unrolled: 7-line block ×3, first 2 shown]
	v_add_f32_e32 v42, v127, v42
	v_mul_f32_e32 v127, 0x3f0a6770, v124
	v_fma_f32 v128, v97, s4, -v127
	v_add_f32_e32 v43, v128, v43
	s_and_saveexec_b64 s[0:1], vcc
	s_cbranch_execz .LBB0_5
; %bb.4:
	v_mul_f32_e32 v152, 0xbe903f40, v109
	v_mov_b32_e32 v128, v152
	v_mul_f32_e32 v153, 0x3f0a6770, v110
	v_fmac_f32_e32 v128, 0xbf75a155, v37
	v_mov_b32_e32 v129, v153
	v_add_f32_e32 v128, v33, v128
	v_fmac_f32_e32 v129, 0x3f575c64, v38
	v_mul_f32_e32 v154, 0xbf4178ce, v111
	v_add_f32_e32 v128, v129, v128
	v_mov_b32_e32 v129, v154
	v_fmac_f32_e32 v129, 0xbf27a4f4, v39
	v_mul_f32_e32 v155, 0x3f68dda4, v118
	v_add_f32_e32 v128, v129, v128
	v_mov_b32_e32 v129, v155
	;; [unrolled: 4-line block ×3, first 2 shown]
	v_fmac_f32_e32 v129, 0xbe11bafb, v97
	v_mul_f32_e32 v157, 0xbe903f40, v101
	v_add_f32_e32 v129, v129, v128
	v_fma_f32 v128, v34, s14, -v157
	v_mul_f32_e32 v158, 0x3f0a6770, v102
	v_add_f32_e32 v128, v32, v128
	v_fma_f32 v130, v35, s4, -v158
	;; [unrolled: 3-line block ×5, first 2 shown]
	v_mul_f32_e32 v162, 0xbf4178ce, v109
	v_add_f32_e32 v128, v130, v128
	v_mov_b32_e32 v130, v162
	v_mul_f32_e32 v163, 0x3f7d64f0, v110
	v_fmac_f32_e32 v130, 0xbf27a4f4, v37
	v_mov_b32_e32 v131, v163
	v_add_f32_e32 v130, v33, v130
	v_fmac_f32_e32 v131, 0xbe11bafb, v38
	v_mul_f32_e32 v164, 0xbf0a6770, v111
	v_add_f32_e32 v130, v131, v130
	v_mov_b32_e32 v131, v164
	v_fmac_f32_e32 v131, 0x3f575c64, v39
	v_mul_f32_e32 v165, 0xbe903f40, v118
	v_add_f32_e32 v130, v131, v130
	v_mov_b32_e32 v131, v165
	;; [unrolled: 4-line block ×3, first 2 shown]
	v_fmac_f32_e32 v131, 0x3ed4b147, v97
	v_mul_f32_e32 v167, 0xbf4178ce, v101
	v_add_f32_e32 v131, v131, v130
	v_fma_f32 v130, v34, s6, -v167
	v_mul_f32_e32 v168, 0x3f7d64f0, v102
	v_add_f32_e32 v130, v32, v130
	v_fma_f32 v169, v35, s7, -v168
	v_add_f32_e32 v130, v169, v130
	v_mul_f32_e32 v169, 0xbf0a6770, v103
	v_fma_f32 v170, v36, s4, -v169
	v_add_f32_e32 v130, v170, v130
	v_mul_f32_e32 v170, 0xbe903f40, v115
	;; [unrolled: 3-line block ×3, first 2 shown]
	v_fma_f32 v172, v96, s5, -v171
	v_add_f32_e32 v84, v33, v84
	v_add_f32_e32 v130, v172, v130
	v_mul_f32_e32 v172, 0xbf7d64f0, v109
	v_add_f32_e32 v84, v84, v85
	v_mov_b32_e32 v109, v172
	v_mul_f32_e32 v173, 0x3e903f40, v110
	v_add_f32_e32 v84, v84, v86
	v_fmac_f32_e32 v109, 0xbe11bafb, v37
	v_mov_b32_e32 v110, v173
	v_add_f32_e32 v84, v84, v87
	v_add_f32_e32 v109, v33, v109
	v_fmac_f32_e32 v110, 0xbf75a155, v38
	v_mul_f32_e32 v111, 0x3f68dda4, v111
	v_add_f32_e32 v84, v84, v88
	v_add_f32_e32 v109, v110, v109
	v_mov_b32_e32 v110, v111
	v_mul_f32_e32 v174, 0xbf7d64f0, v101
	v_add_f32_e32 v84, v84, v89
	v_fmac_f32_e32 v110, 0x3ed4b147, v39
	v_mul_f32_e32 v118, 0xbf0a6770, v118
	v_fma_f32 v101, v34, s7, -v174
	v_mul_f32_e32 v175, 0x3e903f40, v102
	v_add_f32_e32 v84, v84, v90
	v_add_f32_e32 v109, v110, v109
	v_mov_b32_e32 v110, v118
	v_add_f32_e32 v101, v32, v101
	v_fma_f32 v102, v35, s14, -v175
	v_mul_f32_e32 v176, 0x3f68dda4, v103
	v_add_f32_e32 v84, v84, v91
	v_fmac_f32_e32 v110, 0x3f575c64, v74
	v_mul_f32_e32 v124, 0xbf4178ce, v124
	v_add_f32_e32 v101, v102, v101
	v_fma_f32 v102, v36, s5, -v176
	v_mul_f32_e32 v115, 0xbf0a6770, v115
	v_add_f32_e32 v84, v84, v92
	v_add_f32_e32 v109, v110, v109
	v_mov_b32_e32 v110, v124
	v_add_f32_e32 v101, v102, v101
	v_fma_f32 v102, v44, s4, -v115
	v_mul_f32_e32 v117, 0xbf4178ce, v117
	v_add_f32_e32 v85, v84, v94
	v_add_f32_e32 v84, v32, v93
	v_mul_f32_e32 v135, 0x3ed4b147, v37
	v_fmac_f32_e32 v110, 0xbf27a4f4, v97
	v_add_f32_e32 v101, v102, v101
	v_fma_f32 v102, v96, s6, -v117
	v_add_f32_e32 v84, v84, v95
	v_mul_f32_e32 v139, 0xbf27a4f4, v38
	v_add_f32_e32 v110, v110, v109
	v_add_f32_e32 v109, v102, v101
	;; [unrolled: 1-line block ×4, first 2 shown]
	v_mul_f32_e32 v143, 0xbf75a155, v39
	v_add_f32_e32 v101, v33, v101
	v_add_f32_e32 v102, v122, v139
	v_add_f32_e32 v45, v45, v46
	v_mul_f32_e32 v147, 0xbe11bafb, v74
	v_add_f32_e32 v101, v102, v101
	v_add_f32_e32 v102, v125, v143
	v_add_f32_e32 v45, v45, v47
	;; [unrolled: 4-line block ×4, first 2 shown]
	v_mul_f32_e32 v138, 0xbf27a4f4, v35
	v_add_f32_e32 v102, v102, v101
	v_sub_f32_e32 v101, v134, v108
	v_add_f32_e32 v45, v45, v50
	v_mul_f32_e32 v142, 0xbf75a155, v36
	v_add_f32_e32 v101, v32, v101
	v_sub_f32_e32 v103, v138, v116
	v_add_f32_e32 v45, v45, v51
	;; [unrolled: 4-line block ×3, first 2 shown]
	v_fma_f32 v45, v37, s14, -v152
	v_fma_f32 v47, v37, s6, -v162
	v_mul_f32_e32 v150, 0x3f575c64, v96
	v_add_f32_e32 v101, v103, v101
	v_sub_f32_e32 v103, v146, v120
	v_add_f32_e32 v45, v33, v45
	v_fma_f32 v46, v38, s4, -v153
	v_add_f32_e32 v47, v33, v47
	v_fma_f32 v48, v38, s7, -v163
	v_mul_f32_e32 v132, 0x3f575c64, v34
	v_mul_f32_e32 v133, 0x3f575c64, v37
	v_add_f32_e32 v101, v103, v101
	v_sub_f32_e32 v103, v150, v123
	v_add_f32_e32 v45, v46, v45
	v_fma_f32 v46, v39, s6, -v154
	v_add_f32_e32 v47, v48, v47
	v_fma_f32 v48, v39, s4, -v164
	v_mul_f32_e32 v136, 0x3ed4b147, v35
	v_mul_f32_e32 v137, 0x3ed4b147, v38
	v_add_f32_e32 v101, v103, v101
	v_add_f32_e32 v103, v104, v133
	v_sub_f32_e32 v98, v132, v98
	v_add_f32_e32 v45, v46, v45
	v_fma_f32 v46, v74, s5, -v155
	v_add_f32_e32 v47, v48, v47
	v_fma_f32 v48, v74, s14, -v165
	v_mul_f32_e32 v140, 0xbe11bafb, v36
	v_mul_f32_e32 v141, 0xbe11bafb, v39
	v_add_f32_e32 v103, v33, v103
	v_add_f32_e32 v104, v105, v137
	;; [unrolled: 1-line block ×3, first 2 shown]
	v_sub_f32_e32 v99, v136, v99
	v_add_f32_e32 v45, v46, v45
	v_fma_f32 v46, v97, s7, -v156
	v_fmac_f32_e32 v157, 0xbf75a155, v34
	v_add_f32_e32 v47, v48, v47
	v_fma_f32 v48, v97, s5, -v166
	v_fmac_f32_e32 v167, 0xbf27a4f4, v34
	v_fma_f32 v37, v37, s7, -v172
	v_fmac_f32_e32 v174, 0xbe11bafb, v34
	v_mul_f32_e32 v144, 0xbf27a4f4, v44
	v_mul_f32_e32 v145, 0xbf27a4f4, v74
	v_add_f32_e32 v103, v104, v103
	v_add_f32_e32 v104, v106, v141
	;; [unrolled: 1-line block ×3, first 2 shown]
	v_sub_f32_e32 v99, v140, v100
	v_add_f32_e32 v46, v46, v45
	v_add_f32_e32 v45, v32, v157
	v_fmac_f32_e32 v158, 0x3f575c64, v35
	v_add_f32_e32 v48, v48, v47
	v_add_f32_e32 v47, v32, v167
	v_fmac_f32_e32 v168, 0xbe11bafb, v35
	v_add_f32_e32 v33, v33, v37
	v_fma_f32 v37, v38, s14, -v173
	v_add_f32_e32 v32, v32, v174
	v_fmac_f32_e32 v175, 0xbf75a155, v35
	v_mul_f32_e32 v148, 0xbf75a155, v96
	v_mul_f32_e32 v149, 0xbf75a155, v97
	v_add_f32_e32 v103, v104, v103
	v_add_f32_e32 v104, v112, v145
	;; [unrolled: 1-line block ×3, first 2 shown]
	v_sub_f32_e32 v99, v144, v107
	v_add_f32_e32 v45, v158, v45
	v_fmac_f32_e32 v159, 0xbf27a4f4, v36
	v_add_f32_e32 v47, v168, v47
	v_fmac_f32_e32 v169, 0x3f575c64, v36
	v_add_f32_e32 v33, v37, v33
	v_fma_f32 v37, v39, s5, -v111
	v_add_f32_e32 v32, v175, v32
	v_fmac_f32_e32 v176, 0x3ed4b147, v36
	v_add_f32_e32 v103, v104, v103
	v_add_f32_e32 v104, v114, v149
	;; [unrolled: 1-line block ×3, first 2 shown]
	v_sub_f32_e32 v99, v148, v113
	v_add_f32_e32 v45, v159, v45
	v_fmac_f32_e32 v160, 0x3ed4b147, v44
	v_add_f32_e32 v47, v169, v47
	v_fmac_f32_e32 v170, 0xbf75a155, v44
	v_add_f32_e32 v33, v37, v33
	v_fma_f32 v37, v74, s4, -v118
	v_add_f32_e32 v32, v176, v32
	v_fmac_f32_e32 v115, 0x3f575c64, v44
	v_add_f32_e32 v104, v104, v103
	v_add_f32_e32 v103, v99, v98
	;; [unrolled: 1-line block ×3, first 2 shown]
	v_fmac_f32_e32 v161, 0xbe11bafb, v96
	v_add_f32_e32 v47, v170, v47
	v_fmac_f32_e32 v171, 0x3ed4b147, v96
	v_add_f32_e32 v33, v37, v33
	v_fma_f32 v37, v97, s6, -v124
	v_add_f32_e32 v32, v115, v32
	v_fmac_f32_e32 v117, 0xbf27a4f4, v96
	v_lshl_add_u32 v34, v76, 3, v77
	v_add_f32_e32 v45, v161, v45
	v_add_f32_e32 v47, v171, v47
	;; [unrolled: 1-line block ×4, first 2 shown]
	ds_write_b64 v75, v[84:85]
	ds_write2_b64 v34, v[103:104], v[101:102] offset0:9 offset1:18
	ds_write2_b64 v34, v[109:110], v[130:131] offset0:27 offset1:36
	;; [unrolled: 1-line block ×5, first 2 shown]
.LBB0_5:
	s_or_b64 exec, exec, s[0:1]
	s_waitcnt lgkmcnt(0)
	s_barrier
	global_load_dwordx2 v[71:72], v[71:72], off offset:792
	s_add_u32 s0, s12, 0x318
	s_addc_u32 s1, s13, 0
	v_lshlrev_b32_e32 v32, 3, v76
	global_load_dwordx2 v[73:74], v32, s[0:1] offset:264
	global_load_dwordx2 v[84:85], v32, s[0:1] offset:528
	;; [unrolled: 1-line block ×8, first 2 shown]
	ds_read2_b64 v[32:35], v75 offset1:11
	ds_read2_b64 v[36:39], v75 offset0:22 offset1:33
	ds_read2_b64 v[44:47], v75 offset0:66 offset1:77
	;; [unrolled: 1-line block ×3, first 2 shown]
	ds_read_b64 v[98:99], v75 offset:704
	s_waitcnt vmcnt(5) lgkmcnt(4)
	v_mul_f32_e32 v102, v35, v87
	v_mul_f32_e32 v100, v33, v72
	;; [unrolled: 1-line block ×3, first 2 shown]
	v_fma_f32 v100, v32, v71, -v100
	v_fmac_f32_e32 v101, v33, v71
	s_waitcnt lgkmcnt(3)
	v_mul_f32_e32 v32, v39, v74
	v_mul_f32_e32 v33, v38, v74
	s_waitcnt lgkmcnt(2)
	v_mul_f32_e32 v71, v45, v85
	v_mul_f32_e32 v72, v44, v85
	;; [unrolled: 1-line block ×3, first 2 shown]
	s_waitcnt vmcnt(4) lgkmcnt(1)
	v_mul_f32_e32 v103, v49, v89
	v_mul_f32_e32 v85, v48, v89
	s_waitcnt vmcnt(3)
	v_mul_f32_e32 v104, v47, v91
	v_mul_f32_e32 v87, v46, v91
	s_waitcnt vmcnt(2)
	;; [unrolled: 3-line block ×3, first 2 shown]
	v_mul_f32_e32 v106, v51, v97
	v_mul_f32_e32 v91, v50, v97
	s_waitcnt lgkmcnt(0)
	v_mul_f32_e32 v97, v99, v95
	v_mul_f32_e32 v93, v98, v95
	v_fma_f32 v32, v38, v73, -v32
	v_fmac_f32_e32 v33, v39, v73
	v_fma_f32 v71, v44, v84, -v71
	v_fmac_f32_e32 v72, v45, v84
	;; [unrolled: 2-line block ×8, first 2 shown]
	ds_write2_b64 v75, v[100:101], v[73:74] offset1:11
	ds_write2_b64 v75, v[71:72], v[86:87] offset0:66 offset1:77
	ds_write2_b64 v75, v[88:89], v[32:33] offset0:22 offset1:33
	ds_write2_b64 v75, v[84:85], v[90:91] offset0:44 offset1:55
	ds_write_b64 v75, v[92:93] offset:704
	s_waitcnt lgkmcnt(0)
	s_barrier
	ds_read2_b64 v[32:35], v75 offset1:11
	ds_read2_b64 v[36:39], v75 offset0:22 offset1:33
	ds_read2_b64 v[44:47], v75 offset0:66 offset1:77
	;; [unrolled: 1-line block ×3, first 2 shown]
	ds_read_b64 v[71:72], v75 offset:704
	s_waitcnt lgkmcnt(0)
	v_add_f32_e32 v84, v33, v39
	v_add_f32_e32 v74, v38, v44
	v_sub_f32_e32 v85, v39, v45
	v_add_f32_e32 v86, v39, v45
	v_add_f32_e32 v39, v84, v45
	;; [unrolled: 1-line block ×4, first 2 shown]
	v_sub_f32_e32 v90, v49, v47
	v_fma_f32 v32, -0.5, v74, v32
	v_add_f32_e32 v45, v45, v47
	v_add_f32_e32 v47, v49, v47
	v_sub_f32_e32 v87, v38, v44
	v_add_f32_e32 v88, v34, v48
	v_add_f32_e32 v38, v73, v44
	v_mov_b32_e32 v73, v32
	v_fmac_f32_e32 v35, -0.5, v47
	v_add_f32_e32 v89, v48, v46
	v_add_f32_e32 v44, v88, v46
	v_fmac_f32_e32 v32, 0x3f5db3d7, v85
	v_fmac_f32_e32 v73, 0xbf5db3d7, v85
	v_sub_f32_e32 v46, v48, v46
	v_mov_b32_e32 v85, v35
	v_add_f32_e32 v47, v50, v71
	v_fmac_f32_e32 v85, 0x3f5db3d7, v46
	v_fmac_f32_e32 v35, 0xbf5db3d7, v46
	v_add_f32_e32 v46, v36, v50
	v_fma_f32 v36, -0.5, v47, v36
	v_sub_f32_e32 v47, v51, v72
	v_mov_b32_e32 v48, v36
	v_add_f32_e32 v49, v51, v72
	v_fma_f32 v33, -0.5, v86, v33
	v_fmac_f32_e32 v48, 0xbf5db3d7, v47
	v_fmac_f32_e32 v36, 0x3f5db3d7, v47
	v_add_f32_e32 v47, v37, v51
	v_fmac_f32_e32 v37, -0.5, v49
	v_fma_f32 v34, -0.5, v89, v34
	v_mov_b32_e32 v74, v33
	v_sub_f32_e32 v50, v50, v71
	v_mov_b32_e32 v49, v37
	v_fmac_f32_e32 v33, 0xbf5db3d7, v87
	v_mov_b32_e32 v84, v34
	v_fmac_f32_e32 v34, 0x3f5db3d7, v90
	v_fmac_f32_e32 v74, 0x3f5db3d7, v87
	v_add_f32_e32 v46, v46, v71
	v_add_f32_e32 v47, v47, v72
	v_fmac_f32_e32 v49, 0x3f5db3d7, v50
	v_fmac_f32_e32 v37, 0xbf5db3d7, v50
	;; [unrolled: 1-line block ×3, first 2 shown]
	s_barrier
	ds_write2_b64 v78, v[38:39], v[73:74] offset1:1
	ds_write_b64 v78, v[32:33] offset:16
	ds_write2_b64 v79, v[44:45], v[84:85] offset1:1
	ds_write_b64 v79, v[34:35] offset:16
	;; [unrolled: 2-line block ×3, first 2 shown]
	s_waitcnt lgkmcnt(0)
	s_barrier
	ds_read2_b64 v[36:39], v75 offset0:22 offset1:33
	ds_read2_b64 v[32:35], v75 offset1:11
	ds_read2_b64 v[44:47], v75 offset0:66 offset1:77
	ds_read2_b64 v[48:51], v75 offset0:44 offset1:55
	ds_read_b64 v[71:72], v75 offset:704
	s_waitcnt lgkmcnt(4)
	v_mul_f32_e32 v73, v5, v39
	v_fmac_f32_e32 v73, v4, v38
	v_mul_f32_e32 v5, v5, v38
	s_waitcnt lgkmcnt(2)
	v_mul_f32_e32 v38, v7, v45
	v_fma_f32 v5, v4, v39, -v5
	v_fmac_f32_e32 v38, v6, v44
	s_waitcnt lgkmcnt(1)
	v_mul_f32_e32 v39, v1, v49
	v_mul_f32_e32 v1, v1, v48
	v_mul_f32_e32 v4, v7, v44
	v_fma_f32 v44, v0, v49, -v1
	v_add_f32_e32 v1, v73, v38
	v_fma_f32 v6, v6, v45, -v4
	v_fmac_f32_e32 v39, v0, v48
	v_mul_f32_e32 v45, v3, v47
	v_mul_f32_e32 v0, v3, v46
	v_fma_f32 v4, -0.5, v1, v32
	v_fmac_f32_e32 v45, v2, v46
	v_fma_f32 v46, v2, v47, -v0
	v_sub_f32_e32 v1, v5, v6
	v_mov_b32_e32 v2, v4
	v_add_f32_e32 v3, v5, v6
	v_fmac_f32_e32 v2, 0xbf5db3d7, v1
	v_fmac_f32_e32 v4, 0x3f5db3d7, v1
	v_add_f32_e32 v1, v33, v5
	v_fma_f32 v5, -0.5, v3, v33
	v_mul_f32_e32 v0, v9, v50
	v_add_f32_e32 v1, v1, v6
	v_sub_f32_e32 v6, v73, v38
	v_mov_b32_e32 v3, v5
	v_add_f32_e32 v7, v39, v45
	v_mul_f32_e32 v47, v9, v51
	v_fma_f32 v48, v8, v51, -v0
	s_waitcnt lgkmcnt(0)
	v_mul_f32_e32 v0, v11, v71
	v_fmac_f32_e32 v3, 0x3f5db3d7, v6
	v_fmac_f32_e32 v5, 0xbf5db3d7, v6
	v_add_f32_e32 v6, v34, v39
	v_fma_f32 v34, -0.5, v7, v34
	v_fmac_f32_e32 v47, v8, v50
	v_mul_f32_e32 v49, v11, v72
	v_fma_f32 v11, v10, v72, -v0
	v_add_f32_e32 v0, v32, v73
	v_sub_f32_e32 v7, v44, v46
	v_mov_b32_e32 v32, v34
	v_add_f32_e32 v8, v44, v46
	v_fmac_f32_e32 v49, v10, v71
	v_fmac_f32_e32 v32, 0xbf5db3d7, v7
	v_fmac_f32_e32 v34, 0x3f5db3d7, v7
	v_add_f32_e32 v7, v35, v44
	v_fmac_f32_e32 v35, -0.5, v8
	v_sub_f32_e32 v8, v39, v45
	v_mov_b32_e32 v33, v35
	v_add_f32_e32 v9, v47, v49
	v_fmac_f32_e32 v33, 0x3f5db3d7, v8
	v_fmac_f32_e32 v35, 0xbf5db3d7, v8
	v_add_f32_e32 v8, v36, v47
	v_fma_f32 v36, -0.5, v9, v36
	v_sub_f32_e32 v9, v48, v11
	v_mov_b32_e32 v10, v36
	v_fmac_f32_e32 v10, 0xbf5db3d7, v9
	v_fmac_f32_e32 v36, 0x3f5db3d7, v9
	v_add_f32_e32 v9, v37, v48
	v_add_f32_e32 v9, v9, v11
	;; [unrolled: 1-line block ×3, first 2 shown]
	v_fmac_f32_e32 v37, -0.5, v11
	v_add_f32_e32 v0, v0, v38
	v_sub_f32_e32 v38, v47, v49
	v_mov_b32_e32 v11, v37
	v_add_f32_e32 v6, v6, v45
	v_add_f32_e32 v7, v7, v46
	;; [unrolled: 1-line block ×3, first 2 shown]
	v_fmac_f32_e32 v11, 0x3f5db3d7, v38
	v_fmac_f32_e32 v37, 0xbf5db3d7, v38
	s_barrier
	ds_write2_b64 v83, v[0:1], v[2:3] offset1:3
	ds_write_b64 v83, v[4:5] offset:48
	ds_write2_b64 v82, v[6:7], v[32:33] offset1:3
	ds_write_b64 v82, v[34:35] offset:48
	;; [unrolled: 2-line block ×3, first 2 shown]
	s_waitcnt lgkmcnt(0)
	s_barrier
	s_and_saveexec_b64 s[0:1], vcc
	s_cbranch_execz .LBB0_7
; %bb.6:
	ds_read2_b64 v[0:3], v75 offset1:9
	ds_read2_b64 v[4:7], v75 offset0:18 offset1:27
	ds_read2_b64 v[32:35], v75 offset0:36 offset1:45
	;; [unrolled: 1-line block ×4, first 2 shown]
	ds_read_b64 v[40:41], v75 offset:720
	s_waitcnt lgkmcnt(2)
	v_mov_b32_e32 v42, v38
	v_mov_b32_e32 v43, v39
.LBB0_7:
	s_or_b64 exec, exec, s[0:1]
	s_and_saveexec_b64 s[0:1], vcc
	s_cbranch_execz .LBB0_9
; %bb.8:
	v_mul_f32_e32 v39, v25, v2
	s_waitcnt lgkmcnt(0)
	v_mul_f32_e32 v38, v31, v40
	v_fma_f32 v39, v24, v3, -v39
	v_mul_f32_e32 v25, v25, v3
	v_mul_f32_e32 v3, v29, v42
	v_fma_f32 v38, v30, v41, -v38
	v_fmac_f32_e32 v25, v24, v2
	v_mul_f32_e32 v24, v31, v41
	v_fma_f32 v31, v28, v43, -v3
	v_mul_f32_e32 v3, v27, v4
	v_add_f32_e32 v44, v38, v39
	v_fmac_f32_e32 v24, v30, v40
	v_fma_f32 v40, v26, v5, -v3
	v_mul_f32_e32 v27, v27, v5
	v_mul_f32_e32 v45, 0xbf75a155, v44
	v_add_f32_e32 v41, v31, v40
	v_fmac_f32_e32 v27, v26, v4
	v_mul_f32_e32 v26, v29, v43
	v_sub_f32_e32 v30, v25, v24
	v_mov_b32_e32 v2, v45
	v_mul_f32_e32 v46, 0x3f575c64, v41
	v_fmac_f32_e32 v26, v28, v42
	v_fmac_f32_e32 v2, 0x3e903f40, v30
	v_sub_f32_e32 v28, v27, v26
	v_mov_b32_e32 v3, v46
	v_add_f32_e32 v2, v1, v2
	v_fmac_f32_e32 v3, 0xbf0a6770, v28
	v_add_f32_e32 v2, v3, v2
	v_mul_f32_e32 v3, v19, v36
	v_fma_f32 v29, v18, v37, -v3
	v_mul_f32_e32 v3, v21, v6
	v_fma_f32 v42, v20, v7, -v3
	v_add_f32_e32 v43, v29, v42
	v_mul_f32_e32 v21, v21, v7
	v_mul_f32_e32 v19, v19, v37
	;; [unrolled: 1-line block ×3, first 2 shown]
	v_fmac_f32_e32 v21, v20, v6
	v_fmac_f32_e32 v19, v18, v36
	v_sub_f32_e32 v36, v21, v19
	v_mov_b32_e32 v3, v47
	v_fmac_f32_e32 v3, 0x3f4178ce, v36
	v_add_f32_e32 v2, v3, v2
	v_mul_f32_e32 v3, v17, v10
	v_fma_f32 v18, v16, v11, -v3
	v_mul_f32_e32 v3, v23, v32
	v_fma_f32 v20, v22, v33, -v3
	v_add_f32_e32 v37, v18, v20
	v_mul_f32_e32 v23, v23, v33
	v_mul_f32_e32 v17, v17, v11
	;; [unrolled: 1-line block ×3, first 2 shown]
	v_fmac_f32_e32 v23, v22, v32
	v_fmac_f32_e32 v17, v16, v10
	v_sub_f32_e32 v22, v23, v17
	v_mov_b32_e32 v3, v48
	v_fmac_f32_e32 v3, 0xbf68dda4, v22
	v_add_f32_e32 v2, v3, v2
	v_mul_f32_e32 v3, v15, v8
	v_fma_f32 v16, v14, v9, -v3
	v_mul_f32_e32 v3, v13, v34
	v_fma_f32 v32, v12, v35, -v3
	v_mul_f32_e32 v35, v13, v35
	v_add_f32_e32 v10, v16, v32
	v_fmac_f32_e32 v35, v12, v34
	v_mul_f32_e32 v12, v15, v9
	v_mul_f32_e32 v33, 0xbe11bafb, v10
	v_fmac_f32_e32 v12, v14, v8
	v_sub_f32_e32 v34, v35, v12
	v_mov_b32_e32 v3, v33
	v_sub_f32_e32 v13, v39, v38
	v_fmac_f32_e32 v3, 0x3f7d64f0, v34
	v_mul_f32_e32 v14, 0xbe903f40, v13
	v_sub_f32_e32 v15, v40, v31
	v_add_f32_e32 v3, v3, v2
	v_add_f32_e32 v49, v24, v25
	v_mov_b32_e32 v2, v14
	v_mul_f32_e32 v51, 0x3f0a6770, v15
	v_fmac_f32_e32 v2, 0xbf75a155, v49
	v_add_f32_e32 v50, v26, v27
	v_mov_b32_e32 v4, v51
	v_sub_f32_e32 v72, v42, v29
	v_add_f32_e32 v2, v0, v2
	v_fmac_f32_e32 v4, 0x3f575c64, v50
	v_mul_f32_e32 v73, 0xbf4178ce, v72
	v_add_f32_e32 v2, v4, v2
	v_add_f32_e32 v71, v19, v21
	v_mov_b32_e32 v4, v73
	v_sub_f32_e32 v78, v20, v18
	v_fmac_f32_e32 v4, 0xbf27a4f4, v71
	v_mul_f32_e32 v79, 0x3f68dda4, v78
	v_add_f32_e32 v2, v4, v2
	v_add_f32_e32 v74, v17, v23
	v_mov_b32_e32 v4, v79
	v_sub_f32_e32 v81, v32, v16
	v_fmac_f32_e32 v4, 0x3ed4b147, v74
	v_mul_f32_e32 v82, 0xbf7d64f0, v81
	v_add_f32_e32 v2, v4, v2
	v_add_f32_e32 v80, v12, v35
	v_mov_b32_e32 v4, v82
	v_fmac_f32_e32 v4, 0xbe11bafb, v80
	v_mul_f32_e32 v83, 0xbf27a4f4, v44
	v_add_f32_e32 v2, v4, v2
	v_mov_b32_e32 v4, v83
	v_mul_f32_e32 v84, 0xbe11bafb, v41
	v_fmac_f32_e32 v4, 0x3f4178ce, v30
	v_mov_b32_e32 v5, v84
	v_add_f32_e32 v4, v1, v4
	v_fmac_f32_e32 v5, 0xbf7d64f0, v28
	v_mul_f32_e32 v85, 0x3f575c64, v43
	v_add_f32_e32 v4, v5, v4
	v_mov_b32_e32 v5, v85
	v_fmac_f32_e32 v5, 0x3f0a6770, v36
	v_mul_f32_e32 v86, 0xbf75a155, v37
	v_add_f32_e32 v4, v5, v4
	v_mov_b32_e32 v5, v86
	v_fmac_f32_e32 v5, 0x3e903f40, v22
	v_mul_f32_e32 v87, 0x3ed4b147, v10
	v_add_f32_e32 v4, v5, v4
	v_mov_b32_e32 v5, v87
	v_fmac_f32_e32 v5, 0xbf68dda4, v34
	v_mul_f32_e32 v88, 0xbf4178ce, v13
	v_add_f32_e32 v5, v5, v4
	v_mov_b32_e32 v4, v88
	v_mul_f32_e32 v89, 0x3f7d64f0, v15
	v_fmac_f32_e32 v4, 0xbf27a4f4, v49
	v_mov_b32_e32 v6, v89
	v_add_f32_e32 v4, v0, v4
	v_fmac_f32_e32 v6, 0xbe11bafb, v50
	v_mul_f32_e32 v90, 0xbf0a6770, v72
	v_add_f32_e32 v4, v6, v4
	v_mov_b32_e32 v6, v90
	v_fmac_f32_e32 v6, 0x3f575c64, v71
	v_mul_f32_e32 v91, 0xbe903f40, v78
	v_add_f32_e32 v4, v6, v4
	v_mov_b32_e32 v6, v91
	v_fmac_f32_e32 v6, 0xbf75a155, v74
	v_mul_f32_e32 v92, 0x3f68dda4, v81
	;; [unrolled: 20-line block ×6, first 2 shown]
	v_add_f32_e32 v8, v11, v8
	v_mov_b32_e32 v11, v112
	v_fmac_f32_e32 v11, 0x3f575c64, v80
	v_mul_f32_e32 v44, 0x3f575c64, v44
	v_add_f32_e32 v8, v11, v8
	v_mov_b32_e32 v11, v44
	v_mul_f32_e32 v41, 0x3ed4b147, v41
	v_fmac_f32_e32 v11, 0x3f0a6770, v30
	v_mov_b32_e32 v113, v41
	v_add_f32_e32 v11, v1, v11
	v_fmac_f32_e32 v113, 0x3f68dda4, v28
	v_mul_f32_e32 v43, 0xbe11bafb, v43
	v_add_f32_e32 v11, v113, v11
	v_mov_b32_e32 v113, v43
	v_fmac_f32_e32 v113, 0x3f7d64f0, v36
	v_mul_f32_e32 v37, 0xbf27a4f4, v37
	v_add_f32_e32 v11, v113, v11
	v_mov_b32_e32 v113, v37
	v_fmac_f32_e32 v113, 0x3f4178ce, v22
	v_add_f32_e32 v11, v113, v11
	v_mul_f32_e32 v113, 0xbf75a155, v10
	v_mov_b32_e32 v10, v113
	v_fmac_f32_e32 v10, 0x3e903f40, v34
	v_mul_f32_e32 v114, 0xbf0a6770, v13
	v_add_f32_e32 v11, v10, v11
	v_mov_b32_e32 v10, v114
	v_mul_f32_e32 v115, 0xbf68dda4, v15
	v_fmac_f32_e32 v10, 0x3f575c64, v49
	v_mov_b32_e32 v13, v115
	v_add_f32_e32 v10, v0, v10
	v_fmac_f32_e32 v13, 0x3ed4b147, v50
	v_mul_f32_e32 v72, 0xbf7d64f0, v72
	v_add_f32_e32 v10, v13, v10
	v_mov_b32_e32 v13, v72
	v_fmac_f32_e32 v13, 0xbe11bafb, v71
	v_mul_f32_e32 v78, 0xbf4178ce, v78
	v_add_f32_e32 v10, v13, v10
	v_mov_b32_e32 v13, v78
	;; [unrolled: 4-line block ×3, first 2 shown]
	v_fmac_f32_e32 v13, 0xbf75a155, v80
	v_add_f32_e32 v10, v13, v10
	v_add_f32_e32 v13, v39, v1
	;; [unrolled: 1-line block ×4, first 2 shown]
	s_mov_b32 s4, 0xbf75a155
	v_add_f32_e32 v13, v20, v13
	s_mov_b32 s5, 0x3f575c64
	v_add_f32_e32 v13, v32, v13
	v_fma_f32 v14, v49, s4, -v14
	v_add_f32_e32 v13, v16, v13
	v_add_f32_e32 v14, v0, v14
	v_fma_f32 v16, v50, s5, -v51
	s_mov_b32 s7, 0x3ed4b147
	v_add_f32_e32 v14, v16, v14
	v_fma_f32 v16, v71, s6, -v73
	s_mov_b32 s12, 0xbe11bafb
	v_add_f32_e32 v15, v0, v25
	v_add_f32_e32 v14, v16, v14
	v_fma_f32 v16, v74, s7, -v79
	v_add_f32_e32 v15, v27, v15
	v_add_f32_e32 v14, v16, v14
	v_fma_f32 v16, v80, s12, -v82
	v_fmac_f32_e32 v83, 0xbf4178ce, v30
	v_add_f32_e32 v15, v21, v15
	v_add_f32_e32 v14, v16, v14
	;; [unrolled: 1-line block ×3, first 2 shown]
	v_fmac_f32_e32 v84, 0x3f7d64f0, v28
	v_add_f32_e32 v15, v23, v15
	v_add_f32_e32 v16, v84, v16
	v_fmac_f32_e32 v85, 0xbf0a6770, v36
	v_add_f32_e32 v15, v35, v15
	v_add_f32_e32 v16, v85, v16
	v_fmac_f32_e32 v86, 0xbe903f40, v22
	v_add_f32_e32 v12, v12, v15
	v_add_f32_e32 v16, v86, v16
	v_fmac_f32_e32 v87, 0x3f68dda4, v34
	v_add_f32_e32 v12, v17, v12
	v_add_f32_e32 v17, v87, v16
	v_fma_f32 v16, v49, s6, -v88
	v_add_f32_e32 v13, v18, v13
	v_add_f32_e32 v16, v0, v16
	v_fma_f32 v18, v50, s12, -v89
	v_add_f32_e32 v16, v18, v16
	v_fma_f32 v18, v71, s5, -v90
	;; [unrolled: 2-line block ×4, first 2 shown]
	v_fmac_f32_e32 v93, 0xbf7d64f0, v30
	v_add_f32_e32 v16, v18, v16
	v_add_f32_e32 v18, v1, v93
	v_fmac_f32_e32 v94, 0x3e903f40, v28
	v_add_f32_e32 v18, v94, v18
	v_fmac_f32_e32 v95, 0x3f68dda4, v36
	;; [unrolled: 2-line block ×4, first 2 shown]
	v_add_f32_e32 v12, v19, v12
	v_add_f32_e32 v19, v97, v18
	v_fma_f32 v18, v49, s12, -v98
	v_add_f32_e32 v18, v0, v18
	v_fma_f32 v20, v50, s4, -v99
	;; [unrolled: 2-line block ×5, first 2 shown]
	v_fmac_f32_e32 v103, 0xbf68dda4, v30
	v_add_f32_e32 v18, v20, v18
	v_add_f32_e32 v20, v1, v103
	v_fmac_f32_e32 v104, 0xbf4178ce, v28
	v_add_f32_e32 v20, v104, v20
	v_fmac_f32_e32 v105, 0x3e903f40, v36
	;; [unrolled: 2-line block ×4, first 2 shown]
	v_fmac_f32_e32 v45, 0xbe903f40, v30
	v_fmac_f32_e32 v48, 0x3f68dda4, v22
	v_add_f32_e32 v21, v107, v20
	v_fma_f32 v20, v49, s7, -v108
	v_fmac_f32_e32 v44, 0xbf0a6770, v30
	v_fmac_f32_e32 v37, 0xbf4178ce, v22
	v_fma_f32 v22, v49, s5, -v114
	v_add_f32_e32 v13, v29, v13
	v_add_f32_e32 v15, v1, v45
	v_fmac_f32_e32 v46, 0x3f0a6770, v28
	v_add_f32_e32 v20, v0, v20
	v_fma_f32 v23, v50, s6, -v109
	v_add_f32_e32 v1, v1, v44
	v_fmac_f32_e32 v41, 0xbf68dda4, v28
	v_add_f32_e32 v0, v0, v22
	v_fma_f32 v22, v50, s7, -v115
	v_add_f32_e32 v13, v31, v13
	v_add_f32_e32 v12, v26, v12
	;; [unrolled: 1-line block ×3, first 2 shown]
	v_fmac_f32_e32 v47, 0xbf4178ce, v36
	v_add_f32_e32 v20, v23, v20
	v_fma_f32 v23, v71, s4, -v110
	v_add_f32_e32 v1, v41, v1
	v_fmac_f32_e32 v43, 0xbf7d64f0, v36
	v_add_f32_e32 v0, v22, v0
	v_fma_f32 v22, v71, s12, -v72
	v_add_f32_e32 v13, v38, v13
	v_add_f32_e32 v12, v24, v12
	;; [unrolled: 1-line block ×4, first 2 shown]
	v_fma_f32 v23, v74, s12, -v111
	v_add_f32_e32 v1, v43, v1
	v_add_f32_e32 v0, v22, v0
	v_fma_f32 v22, v74, s6, -v78
	v_add_f32_e32 v15, v48, v15
	v_fmac_f32_e32 v33, 0xbf7d64f0, v34
	v_add_f32_e32 v20, v23, v20
	v_fma_f32 v23, v80, s5, -v112
	v_add_f32_e32 v1, v37, v1
	v_fmac_f32_e32 v113, 0xbe903f40, v34
	v_add_f32_e32 v0, v22, v0
	v_fma_f32 v22, v80, s4, -v81
	ds_write_b64 v75, v[12:13]
	v_lshl_add_u32 v12, v76, 3, v77
	v_add_f32_e32 v15, v33, v15
	v_add_f32_e32 v20, v23, v20
	;; [unrolled: 1-line block ×4, first 2 shown]
	ds_write2_b64 v12, v[10:11], v[8:9] offset0:9 offset1:18
	ds_write2_b64 v12, v[6:7], v[4:5] offset0:27 offset1:36
	;; [unrolled: 1-line block ×5, first 2 shown]
.LBB0_9:
	s_or_b64 exec, exec, s[0:1]
	s_waitcnt lgkmcnt(0)
	s_barrier
	ds_read2_b64 v[0:3], v75 offset1:11
	v_mad_u64_u32 v[8:9], s[0:1], s10, v58, 0
	s_mov_b32 s0, 0xa052bf5b
	s_mov_b32 s1, 0x3f84afd6
	s_waitcnt lgkmcnt(0)
	v_mul_f32_e32 v5, v70, v1
	v_fmac_f32_e32 v5, v69, v0
	v_cvt_f64_f32_e32 v[5:6], v5
	v_mul_f32_e32 v0, v70, v0
	v_fma_f32 v0, v69, v1, -v0
	v_mov_b32_e32 v4, v9
	v_mul_f64 v[5:6], v[5:6], s[0:1]
	v_cvt_f64_f32_e32 v[0:1], v0
	v_mul_f64 v[0:1], v[0:1], s[0:1]
	v_mad_u64_u32 v[9:10], s[4:5], s11, v58, v[4:5]
	v_mad_u64_u32 v[10:11], s[4:5], s8, v76, 0
	v_cvt_f32_f64_e32 v12, v[5:6]
	v_cvt_f32_f64_e32 v13, v[0:1]
	v_mov_b32_e32 v4, v11
	v_mad_u64_u32 v[14:15], s[4:5], s9, v76, v[4:5]
	ds_read2_b64 v[4:7], v75 offset0:22 offset1:33
	v_lshlrev_b64 v[0:1], 3, v[8:9]
	v_mov_b32_e32 v11, v14
	v_mov_b32_e32 v14, s3
	v_add_co_u32_e32 v16, vcc, s2, v0
	s_waitcnt lgkmcnt(0)
	v_mul_f32_e32 v8, v68, v7
	v_fmac_f32_e32 v8, v67, v6
	v_mul_f32_e32 v6, v68, v6
	v_fma_f32 v6, v67, v7, -v6
	v_cvt_f64_f32_e32 v[8:9], v8
	v_cvt_f64_f32_e32 v[6:7], v6
	v_addc_co_u32_e32 v17, vcc, v14, v1, vcc
	v_lshlrev_b64 v[0:1], 3, v[10:11]
	v_mul_f64 v[10:11], v[8:9], s[0:1]
	v_mul_f64 v[14:15], v[6:7], s[0:1]
	ds_read2_b64 v[6:9], v75 offset0:66 offset1:77
	v_add_co_u32_e32 v0, vcc, v16, v0
	v_addc_co_u32_e32 v1, vcc, v17, v1, vcc
	global_store_dwordx2 v[0:1], v[12:13], off
	s_waitcnt lgkmcnt(0)
	v_mul_f32_e32 v12, v66, v7
	v_fmac_f32_e32 v12, v65, v6
	v_mul_f32_e32 v6, v66, v6
	v_fma_f32 v6, v65, v7, -v6
	v_cvt_f64_f32_e32 v[6:7], v6
	v_cvt_f64_f32_e32 v[12:13], v12
	v_cvt_f32_f64_e32 v10, v[10:11]
	v_cvt_f32_f64_e32 v11, v[14:15]
	v_mul_f64 v[6:7], v[6:7], s[0:1]
	v_mul_f64 v[12:13], v[12:13], s[0:1]
	s_mul_i32 s2, s9, 0x108
	s_mul_hi_u32 s3, s8, 0x108
	s_add_i32 s4, s3, s2
	s_mul_i32 s5, s8, 0x108
	v_mov_b32_e32 v15, s4
	v_add_co_u32_e32 v14, vcc, s5, v0
	v_mul_f32_e32 v0, v62, v3
	v_addc_co_u32_e32 v15, vcc, v1, v15, vcc
	v_fmac_f32_e32 v0, v61, v2
	global_store_dwordx2 v[14:15], v[10:11], off
	v_cvt_f32_f64_e32 v11, v[6:7]
	v_cvt_f64_f32_e32 v[6:7], v0
	v_mul_f32_e32 v0, v62, v2
	v_fma_f32 v0, v61, v3, -v0
	v_cvt_f32_f64_e32 v10, v[12:13]
	v_cvt_f64_f32_e32 v[12:13], v0
	ds_read2_b64 v[0:3], v75 offset0:44 offset1:55
	v_mov_b32_e32 v16, s4
	v_add_co_u32_e32 v14, vcc, s5, v14
	v_addc_co_u32_e32 v15, vcc, v15, v16, vcc
	global_store_dwordx2 v[14:15], v[10:11], off
	v_mul_f64 v[10:11], v[12:13], s[0:1]
	s_waitcnt lgkmcnt(0)
	v_mul_f32_e32 v12, v64, v1
	v_fmac_f32_e32 v12, v63, v0
	v_mul_f32_e32 v0, v64, v0
	v_fma_f32 v0, v63, v1, -v0
	v_mul_f64 v[6:7], v[6:7], s[0:1]
	v_cvt_f64_f32_e32 v[0:1], v0
	v_cvt_f64_f32_e32 v[12:13], v12
	v_mov_b32_e32 v16, 0xfffffe48
	v_mad_u64_u32 v[14:15], s[2:3], s8, v16, v[14:15]
	v_mul_f64 v[0:1], v[0:1], s[0:1]
	v_mul_f64 v[12:13], v[12:13], s[0:1]
	v_cvt_f32_f64_e32 v6, v[6:7]
	v_cvt_f32_f64_e32 v7, v[10:11]
	s_mul_i32 s2, s9, 0xfffffe48
	s_sub_i32 s6, s2, s8
	v_add_u32_e32 v15, s6, v15
	global_store_dwordx2 v[14:15], v[6:7], off
	v_cvt_f32_f64_e32 v7, v[0:1]
	v_mul_f32_e32 v0, v60, v9
	v_fmac_f32_e32 v0, v59, v8
	v_mul_f32_e32 v8, v60, v8
	v_fma_f32 v8, v59, v9, -v8
	v_cvt_f32_f64_e32 v6, v[12:13]
	v_cvt_f64_f32_e32 v[0:1], v0
	v_cvt_f64_f32_e32 v[8:9], v8
	v_mov_b32_e32 v11, s4
	v_add_co_u32_e32 v10, vcc, s5, v14
	v_addc_co_u32_e32 v11, vcc, v15, v11, vcc
	global_store_dwordx2 v[10:11], v[6:7], off
	v_mul_f64 v[0:1], v[0:1], s[0:1]
	v_mul_f64 v[6:7], v[8:9], s[0:1]
	v_mul_f32_e32 v8, v57, v5
	v_fmac_f32_e32 v8, v56, v4
	v_cvt_f64_f32_e32 v[8:9], v8
	v_mul_f32_e32 v4, v57, v4
	v_fma_f32 v4, v56, v5, -v4
	v_cvt_f64_f32_e32 v[4:5], v4
	v_cvt_f32_f64_e32 v0, v[0:1]
	v_cvt_f32_f64_e32 v1, v[6:7]
	v_mul_f64 v[6:7], v[8:9], s[0:1]
	v_mul_f64 v[4:5], v[4:5], s[0:1]
	v_mov_b32_e32 v9, s4
	v_add_co_u32_e32 v8, vcc, s5, v10
	v_addc_co_u32_e32 v9, vcc, v11, v9, vcc
	global_store_dwordx2 v[8:9], v[0:1], off
	v_cvt_f32_f64_e32 v0, v[6:7]
	v_mul_f32_e32 v6, v55, v3
	v_fmac_f32_e32 v6, v54, v2
	v_mul_f32_e32 v2, v55, v2
	v_cvt_f32_f64_e32 v1, v[4:5]
	v_mad_u64_u32 v[4:5], s[2:3], s8, v16, v[8:9]
	v_fma_f32 v2, v54, v3, -v2
	v_cvt_f64_f32_e32 v[6:7], v6
	v_cvt_f64_f32_e32 v[2:3], v2
	ds_read_b64 v[8:9], v75 offset:704
	v_add_u32_e32 v5, s6, v5
	global_store_dwordx2 v[4:5], v[0:1], off
	v_mul_f64 v[0:1], v[6:7], s[0:1]
	v_mul_f64 v[2:3], v[2:3], s[0:1]
	s_waitcnt lgkmcnt(0)
	v_mul_f32_e32 v6, v53, v9
	v_fmac_f32_e32 v6, v52, v8
	v_mul_f32_e32 v8, v53, v8
	v_fma_f32 v8, v52, v9, -v8
	v_cvt_f64_f32_e32 v[6:7], v6
	v_cvt_f64_f32_e32 v[8:9], v8
	v_cvt_f32_f64_e32 v0, v[0:1]
	v_cvt_f32_f64_e32 v1, v[2:3]
	v_mul_f64 v[2:3], v[6:7], s[0:1]
	v_mul_f64 v[6:7], v[8:9], s[0:1]
	v_mov_b32_e32 v8, s4
	v_add_co_u32_e32 v4, vcc, s5, v4
	v_addc_co_u32_e32 v5, vcc, v5, v8, vcc
	global_store_dwordx2 v[4:5], v[0:1], off
	v_cvt_f32_f64_e32 v0, v[2:3]
	v_cvt_f32_f64_e32 v1, v[6:7]
	v_mov_b32_e32 v3, s4
	v_add_co_u32_e32 v2, vcc, s5, v4
	v_addc_co_u32_e32 v3, vcc, v5, v3, vcc
	global_store_dwordx2 v[2:3], v[0:1], off
.LBB0_10:
	s_endpgm
	.section	.rodata,"a",@progbits
	.p2align	6, 0x0
	.amdhsa_kernel bluestein_single_fwd_len99_dim1_sp_op_CI_CI
		.amdhsa_group_segment_fixed_size 15840
		.amdhsa_private_segment_fixed_size 0
		.amdhsa_kernarg_size 104
		.amdhsa_user_sgpr_count 6
		.amdhsa_user_sgpr_private_segment_buffer 1
		.amdhsa_user_sgpr_dispatch_ptr 0
		.amdhsa_user_sgpr_queue_ptr 0
		.amdhsa_user_sgpr_kernarg_segment_ptr 1
		.amdhsa_user_sgpr_dispatch_id 0
		.amdhsa_user_sgpr_flat_scratch_init 0
		.amdhsa_user_sgpr_private_segment_size 0
		.amdhsa_uses_dynamic_stack 0
		.amdhsa_system_sgpr_private_segment_wavefront_offset 0
		.amdhsa_system_sgpr_workgroup_id_x 1
		.amdhsa_system_sgpr_workgroup_id_y 0
		.amdhsa_system_sgpr_workgroup_id_z 0
		.amdhsa_system_sgpr_workgroup_info 0
		.amdhsa_system_vgpr_workitem_id 0
		.amdhsa_next_free_vgpr 177
		.amdhsa_next_free_sgpr 20
		.amdhsa_reserve_vcc 1
		.amdhsa_reserve_flat_scratch 0
		.amdhsa_float_round_mode_32 0
		.amdhsa_float_round_mode_16_64 0
		.amdhsa_float_denorm_mode_32 3
		.amdhsa_float_denorm_mode_16_64 3
		.amdhsa_dx10_clamp 1
		.amdhsa_ieee_mode 1
		.amdhsa_fp16_overflow 0
		.amdhsa_exception_fp_ieee_invalid_op 0
		.amdhsa_exception_fp_denorm_src 0
		.amdhsa_exception_fp_ieee_div_zero 0
		.amdhsa_exception_fp_ieee_overflow 0
		.amdhsa_exception_fp_ieee_underflow 0
		.amdhsa_exception_fp_ieee_inexact 0
		.amdhsa_exception_int_div_zero 0
	.end_amdhsa_kernel
	.text
.Lfunc_end0:
	.size	bluestein_single_fwd_len99_dim1_sp_op_CI_CI, .Lfunc_end0-bluestein_single_fwd_len99_dim1_sp_op_CI_CI
                                        ; -- End function
	.section	.AMDGPU.csdata,"",@progbits
; Kernel info:
; codeLenInByte = 8728
; NumSgprs: 24
; NumVgprs: 177
; ScratchSize: 0
; MemoryBound: 0
; FloatMode: 240
; IeeeMode: 1
; LDSByteSize: 15840 bytes/workgroup (compile time only)
; SGPRBlocks: 2
; VGPRBlocks: 44
; NumSGPRsForWavesPerEU: 24
; NumVGPRsForWavesPerEU: 177
; Occupancy: 1
; WaveLimiterHint : 1
; COMPUTE_PGM_RSRC2:SCRATCH_EN: 0
; COMPUTE_PGM_RSRC2:USER_SGPR: 6
; COMPUTE_PGM_RSRC2:TRAP_HANDLER: 0
; COMPUTE_PGM_RSRC2:TGID_X_EN: 1
; COMPUTE_PGM_RSRC2:TGID_Y_EN: 0
; COMPUTE_PGM_RSRC2:TGID_Z_EN: 0
; COMPUTE_PGM_RSRC2:TIDIG_COMP_CNT: 0
	.type	__hip_cuid_c9764e94c050df60,@object ; @__hip_cuid_c9764e94c050df60
	.section	.bss,"aw",@nobits
	.globl	__hip_cuid_c9764e94c050df60
__hip_cuid_c9764e94c050df60:
	.byte	0                               ; 0x0
	.size	__hip_cuid_c9764e94c050df60, 1

	.ident	"AMD clang version 19.0.0git (https://github.com/RadeonOpenCompute/llvm-project roc-6.4.0 25133 c7fe45cf4b819c5991fe208aaa96edf142730f1d)"
	.section	".note.GNU-stack","",@progbits
	.addrsig
	.addrsig_sym __hip_cuid_c9764e94c050df60
	.amdgpu_metadata
---
amdhsa.kernels:
  - .args:
      - .actual_access:  read_only
        .address_space:  global
        .offset:         0
        .size:           8
        .value_kind:     global_buffer
      - .actual_access:  read_only
        .address_space:  global
        .offset:         8
        .size:           8
        .value_kind:     global_buffer
      - .actual_access:  read_only
        .address_space:  global
        .offset:         16
        .size:           8
        .value_kind:     global_buffer
      - .actual_access:  read_only
        .address_space:  global
        .offset:         24
        .size:           8
        .value_kind:     global_buffer
      - .actual_access:  read_only
        .address_space:  global
        .offset:         32
        .size:           8
        .value_kind:     global_buffer
      - .offset:         40
        .size:           8
        .value_kind:     by_value
      - .address_space:  global
        .offset:         48
        .size:           8
        .value_kind:     global_buffer
      - .address_space:  global
        .offset:         56
        .size:           8
        .value_kind:     global_buffer
      - .address_space:  global
        .offset:         64
        .size:           8
        .value_kind:     global_buffer
      - .address_space:  global
        .offset:         72
        .size:           8
        .value_kind:     global_buffer
      - .offset:         80
        .size:           4
        .value_kind:     by_value
      - .address_space:  global
        .offset:         88
        .size:           8
        .value_kind:     global_buffer
      - .address_space:  global
        .offset:         96
        .size:           8
        .value_kind:     global_buffer
    .group_segment_fixed_size: 15840
    .kernarg_segment_align: 8
    .kernarg_segment_size: 104
    .language:       OpenCL C
    .language_version:
      - 2
      - 0
    .max_flat_workgroup_size: 220
    .name:           bluestein_single_fwd_len99_dim1_sp_op_CI_CI
    .private_segment_fixed_size: 0
    .sgpr_count:     24
    .sgpr_spill_count: 0
    .symbol:         bluestein_single_fwd_len99_dim1_sp_op_CI_CI.kd
    .uniform_work_group_size: 1
    .uses_dynamic_stack: false
    .vgpr_count:     177
    .vgpr_spill_count: 0
    .wavefront_size: 64
amdhsa.target:   amdgcn-amd-amdhsa--gfx906
amdhsa.version:
  - 1
  - 2
...

	.end_amdgpu_metadata
